;; amdgpu-corpus repo=ROCm/rocFFT kind=compiled arch=gfx1030 opt=O3
	.text
	.amdgcn_target "amdgcn-amd-amdhsa--gfx1030"
	.amdhsa_code_object_version 6
	.protected	fft_rtc_back_len169_factors_13_13_wgs_156_tpt_13_half_op_CI_CI_sbrc_xy_z_aligned_dirReg ; -- Begin function fft_rtc_back_len169_factors_13_13_wgs_156_tpt_13_half_op_CI_CI_sbrc_xy_z_aligned_dirReg
	.globl	fft_rtc_back_len169_factors_13_13_wgs_156_tpt_13_half_op_CI_CI_sbrc_xy_z_aligned_dirReg
	.p2align	8
	.type	fft_rtc_back_len169_factors_13_13_wgs_156_tpt_13_half_op_CI_CI_sbrc_xy_z_aligned_dirReg,@function
fft_rtc_back_len169_factors_13_13_wgs_156_tpt_13_half_op_CI_CI_sbrc_xy_z_aligned_dirReg: ; @fft_rtc_back_len169_factors_13_13_wgs_156_tpt_13_half_op_CI_CI_sbrc_xy_z_aligned_dirReg
; %bb.0:
	s_clause 0x2
	s_load_dwordx4 s[16:19], s[4:5], 0x10
	s_load_dwordx4 s[8:11], s[4:5], 0x58
	s_load_dwordx2 s[26:27], s[4:5], 0x20
	s_waitcnt lgkmcnt(0)
	s_load_dwordx4 s[20:23], s[16:17], 0x8
	s_clause 0x1
	s_load_dwordx4 s[12:15], s[18:19], 0x0
	s_load_dwordx2 s[24:25], s[18:19], 0x10
	s_waitcnt lgkmcnt(0)
	s_add_i32 s0, s22, -1
	s_load_dwordx2 s[22:23], s[4:5], 0x0
	s_mul_hi_u32 s0, s0, 0xaaaaaaab
	s_lshr_b32 s0, s0, 3
	s_add_i32 s0, s0, 1
	s_mul_i32 s28, s0, s20
	v_cvt_f32_u32_e32 v1, s28
	s_sub_i32 s1, 0, s28
	v_rcp_iflag_f32_e32 v1, v1
	v_mul_f32_e32 v1, 0x4f7ffffe, v1
	v_cvt_u32_f32_e32 v1, v1
	v_readfirstlane_b32 s0, v1
	v_cvt_f32_u32_e32 v1, s20
	s_mul_i32 s1, s1, s0
	s_mul_hi_u32 s1, s0, s1
	s_add_i32 s0, s0, s1
	s_mul_hi_u32 s7, s6, s0
	s_mul_i32 s0, s7, s28
	s_add_i32 s25, s7, 1
	s_sub_i32 s15, s6, s0
	s_clause 0x1
	s_load_dwordx4 s[0:3], s[26:27], 0x0
	s_load_dwordx2 s[16:17], s[26:27], 0x10
	s_sub_i32 s29, s15, s28
	s_cmp_ge_u32 s15, s28
	s_waitcnt lgkmcnt(0)
	s_cselect_b32 s3, s25, s7
	s_cselect_b32 s7, s29, s15
	s_add_i32 s15, s3, 1
	s_cmp_ge_u32 s7, s28
	s_mov_b32 s7, 0
	s_cselect_b32 s17, s15, s3
	s_mov_b32 s31, s7
	s_mul_i32 s3, s17, s28
	s_mov_b64 s[28:29], 0
	s_sub_i32 s30, s6, s3
	v_cmp_lt_u64_e64 s3, s[30:31], s[20:21]
	s_and_b32 vcc_lo, exec_lo, s3
	s_cbranch_vccnz .LBB0_2
; %bb.1:
	v_rcp_iflag_f32_e32 v2, v1
	s_sub_i32 s15, 0, s20
	v_mul_f32_e32 v2, 0x4f7ffffe, v2
	v_cvt_u32_f32_e32 v2, v2
	v_readfirstlane_b32 s3, v2
	s_mul_i32 s15, s15, s3
	s_mul_hi_u32 s15, s3, s15
	s_add_i32 s3, s3, s15
	s_mul_hi_u32 s3, s30, s3
	s_mul_i32 s15, s3, s20
	s_add_i32 s25, s3, 1
	s_sub_i32 s15, s30, s15
	s_sub_i32 s28, s15, s20
	s_cmp_ge_u32 s15, s20
	s_cselect_b32 s3, s25, s3
	s_cselect_b32 s15, s28, s15
	s_add_i32 s25, s3, 1
	s_cmp_ge_u32 s15, s20
	s_cselect_b32 s28, s25, s3
.LBB0_2:
	v_cmp_lt_u64_e64 s3, s[6:7], s[20:21]
	s_and_b32 vcc_lo, exec_lo, s3
	s_cbranch_vccnz .LBB0_4
; %bb.3:
	v_rcp_iflag_f32_e32 v1, v1
	s_sub_i32 s7, 0, s20
	v_mul_f32_e32 v1, 0x4f7ffffe, v1
	v_cvt_u32_f32_e32 v1, v1
	v_readfirstlane_b32 s3, v1
	s_mul_i32 s7, s7, s3
	s_mul_hi_u32 s7, s3, s7
	s_add_i32 s3, s3, s7
	s_mul_hi_u32 s3, s6, s3
	s_mul_i32 s3, s3, s20
	s_sub_i32 s3, s6, s3
	s_sub_i32 s6, s3, s20
	s_cmp_ge_u32 s3, s20
	s_cselect_b32 s3, s6, s3
	s_sub_i32 s6, s3, s20
	s_cmp_ge_u32 s3, s20
	s_cselect_b32 s6, s6, s3
.LBB0_4:
	s_load_dwordx2 s[4:5], s[4:5], 0x8
	s_mul_i32 s3, s28, 12
	s_mul_i32 s7, s6, s14
	;; [unrolled: 1-line block ×3, first 2 shown]
	v_mul_u32_u24_e32 v1, 0x184, v0
	v_add_nc_u16 v3, v0, 0x9c
	v_mov_b32_e32 v14, 0x184
	s_add_i32 s14, s7, s14
	v_add_nc_u16 v4, v0, 0x138
	v_lshrrev_b32_e32 v26, 16, v1
	v_add_nc_u16 v9, v0, 0x1d4
	v_mul_u32_u24_sdwa v1, v3, v14 dst_sel:DWORD dst_unused:UNUSED_PAD src0_sel:WORD_0 src1_sel:DWORD
	s_mov_b32 s15, 0
	v_mul_u32_u24_sdwa v5, v4, v14 dst_sel:DWORD dst_unused:UNUSED_PAD src0_sel:WORD_0 src1_sel:DWORD
	v_mul_lo_u16 v6, 0xa9, v26
	v_mov_b32_e32 v2, 0
	v_lshrrev_b32_e32 v27, 16, v1
	v_mul_u32_u24_sdwa v1, v9, v14 dst_sel:DWORD dst_unused:UNUSED_PAD src0_sel:WORD_0 src1_sel:DWORD
	v_lshrrev_b32_e32 v28, 16, v5
	v_sub_nc_u16 v29, v0, v6
	s_waitcnt lgkmcnt(0)
	s_lshl_b64 s[4:5], s[4:5], 3
	v_mul_lo_u16 v5, 0xa9, v27
	s_add_u32 s18, s18, s4
	s_addc_u32 s19, s19, s5
	v_mul_lo_u16 v6, 0xa9, v28
	s_load_dwordx2 s[18:19], s[18:19], 0x0
	v_sub_nc_u16 v31, v3, v5
	v_and_b32_e32 v10, 0xffff, v29
	v_lshrrev_b32_e32 v30, 16, v1
	v_sub_nc_u16 v32, v4, v6
	v_mul_lo_u32 v1, s24, v26
	v_and_b32_e32 v12, 0xffff, v31
	v_mad_u64_u32 v[3:4], null, s12, v10, 0
	v_mul_lo_u16 v11, 0xa9, v30
	v_and_b32_e32 v16, 0xffff, v32
	v_mad_u64_u32 v[5:6], null, s12, v12, 0
	v_add_nc_u16 v15, v0, 0x270
	v_sub_nc_u16 v33, v9, v11
	v_mad_u64_u32 v[7:8], null, s12, v16, 0
	v_mov_b32_e32 v35, 0xc1f
	v_add_nc_u16 v18, v0, 0x3a8
	v_mad_u64_u32 v[9:10], null, s13, v10, v[4:5]
	s_waitcnt lgkmcnt(0)
	s_mul_i32 s7, s19, s17
	s_mul_hi_u32 s19, s18, s17
	v_mov_b32_e32 v4, v6
	s_add_i32 s19, s19, s7
	s_add_u32 s4, s26, s4
	s_addc_u32 s5, s27, s5
	v_mov_b32_e32 v6, v8
	s_load_dwordx2 s[4:5], s[4:5], 0x0
	v_mad_u64_u32 v[12:13], null, s13, v12, v[4:5]
	v_mov_b32_e32 v4, v9
	s_mul_i32 s18, s18, s17
	v_mad_u64_u32 v[8:9], null, s13, v16, v[6:7]
	s_lshl_b64 s[18:19], s[18:19], 2
	v_lshlrev_b64 v[3:4], 2, v[3:4]
	v_mov_b32_e32 v6, v12
	v_lshlrev_b64 v[10:11], 2, v[1:2]
	v_mul_lo_u32 v1, s24, v27
	v_and_b32_e32 v17, 0xffff, v33
	v_lshlrev_b64 v[7:8], 2, v[7:8]
	v_lshlrev_b64 v[5:6], 2, v[5:6]
	v_add_nc_u16 v20, v0, 0x444
	v_add_nc_u16 v23, v0, 0x4e0
	;; [unrolled: 1-line block ×3, first 2 shown]
	s_waitcnt lgkmcnt(0)
	s_mul_i32 s5, s5, s17
	s_mul_hi_u32 s7, s4, s17
	v_mul_u32_u24_sdwa v25, v45, v35 dst_sel:DWORD dst_unused:UNUSED_PAD src0_sel:WORD_0 src1_sel:DWORD
	s_add_i32 s5, s7, s5
	s_add_u32 s7, s8, s18
	s_addc_u32 s18, s9, s19
	s_lshl_b64 s[8:9], s[14:15], 2
	v_lshrrev_b32_e32 v46, 19, v25
	s_add_u32 s7, s7, s8
	s_addc_u32 s8, s18, s9
	v_add_co_u32 v3, vcc_lo, s7, v3
	v_add_co_ci_u32_e32 v4, vcc_lo, s8, v4, vcc_lo
	v_add_co_u32 v12, vcc_lo, s7, v5
	v_add_co_ci_u32_e32 v13, vcc_lo, s8, v6, vcc_lo
	;; [unrolled: 2-line block ×3, first 2 shown]
	v_mul_u32_u24_sdwa v11, v15, v14 dst_sel:DWORD dst_unused:UNUSED_PAD src0_sel:WORD_0 src1_sel:DWORD
	v_lshlrev_b64 v[5:6], 2, v[1:2]
	v_mad_u64_u32 v[9:10], null, s12, v17, 0
	v_mul_lo_u32 v1, s24, v28
	v_lshrrev_b32_e32 v34, 16, v11
	v_add_nc_u16 v14, v0, 0x30c
	v_add_co_u32 v5, vcc_lo, v12, v5
	v_add_co_ci_u32_e32 v6, vcc_lo, v13, v6, vcc_lo
	v_mul_lo_u16 v13, 0xa9, v34
	v_mad_u64_u32 v[10:11], null, s13, v17, v[10:11]
	v_lshlrev_b64 v[11:12], 2, v[1:2]
	v_add_co_u32 v7, vcc_lo, s7, v7
	v_sub_nc_u16 v36, v15, v13
	v_mul_u32_u24_sdwa v1, v14, v35 dst_sel:DWORD dst_unused:UNUSED_PAD src0_sel:WORD_0 src1_sel:DWORD
	v_add_co_ci_u32_e32 v8, vcc_lo, s8, v8, vcc_lo
	v_add_co_u32 v7, vcc_lo, v7, v11
	v_and_b32_e32 v15, 0xffff, v36
	v_lshrrev_b32_e32 v37, 19, v1
	v_add_co_ci_u32_e32 v8, vcc_lo, v8, v12, vcc_lo
	v_lshlrev_b64 v[9:10], 2, v[9:10]
	v_mad_u64_u32 v[11:12], null, s12, v15, 0
	v_mul_lo_u16 v13, 0xa9, v37
	v_mul_lo_u32 v1, s24, v30
	s_mul_i32 s4, s4, s17
	v_add_co_u32 v16, vcc_lo, s7, v9
	v_sub_nc_u16 v38, v14, v13
	v_mov_b32_e32 v9, v12
	v_add_co_ci_u32_e32 v17, vcc_lo, s8, v10, vcc_lo
	v_lshlrev_b64 v[12:13], 2, v[1:2]
	v_and_b32_e32 v19, 0xffff, v38
	v_mad_u64_u32 v[9:10], null, s13, v15, v[9:10]
	v_mul_u32_u24_sdwa v1, v18, v35 dst_sel:DWORD dst_unused:UNUSED_PAD src0_sel:WORD_0 src1_sel:DWORD
	s_mul_i32 s14, s6, s16
	v_mad_u64_u32 v[14:15], null, s12, v19, 0
	v_add_co_u32 v16, vcc_lo, v16, v12
	v_mov_b32_e32 v12, v9
	v_lshrrev_b32_e32 v39, 19, v1
	v_add_co_ci_u32_e32 v17, vcc_lo, v17, v13, vcc_lo
	v_mov_b32_e32 v9, v15
	v_lshlrev_b64 v[10:11], 2, v[11:12]
	v_mul_lo_u16 v15, 0xa9, v39
	v_mul_lo_u32 v1, s24, v34
	v_mad_u64_u32 v[12:13], null, s13, v19, v[9:10]
	v_mul_u32_u24_sdwa v13, v20, v35 dst_sel:DWORD dst_unused:UNUSED_PAD src0_sel:WORD_0 src1_sel:DWORD
	v_sub_nc_u16 v40, v18, v15
	v_add_co_u32 v18, vcc_lo, s7, v10
	v_lshlrev_b64 v[9:10], 2, v[1:2]
	v_lshrrev_b32_e32 v41, 19, v13
	v_and_b32_e32 v21, 0xffff, v40
	v_mov_b32_e32 v15, v12
	v_mul_lo_u32 v1, s24, v37
	v_add_co_ci_u32_e32 v19, vcc_lo, s8, v11, vcc_lo
	v_mul_lo_u16 v13, 0xa9, v41
	v_mad_u64_u32 v[11:12], null, s12, v21, 0
	v_add_co_u32 v9, vcc_lo, v18, v9
	v_sub_nc_u16 v42, v20, v13
	v_lshlrev_b64 v[13:14], 2, v[14:15]
	v_add_co_ci_u32_e32 v10, vcc_lo, v19, v10, vcc_lo
	v_lshlrev_b64 v[18:19], 2, v[1:2]
	v_mul_u32_u24_sdwa v1, v23, v35 dst_sel:DWORD dst_unused:UNUSED_PAD src0_sel:WORD_0 src1_sel:DWORD
	v_and_b32_e32 v24, 0xffff, v42
	v_mad_u64_u32 v[20:21], null, s13, v21, v[12:13]
	v_lshrrev_b32_e32 v43, 19, v1
	v_mad_u64_u32 v[21:22], null, s12, v24, 0
	v_add_co_u32 v1, vcc_lo, s7, v13
	v_mov_b32_e32 v12, v20
	v_mul_lo_u16 v20, 0xa9, v43
	v_add_co_ci_u32_e32 v14, vcc_lo, s8, v14, vcc_lo
	v_mov_b32_e32 v15, v22
	v_add_co_u32 v13, vcc_lo, v1, v18
	v_sub_nc_u16 v44, v23, v20
	v_mul_lo_u32 v1, s24, v39
	v_lshlrev_b64 v[11:12], 2, v[11:12]
	v_add_co_ci_u32_e32 v14, vcc_lo, v14, v19, vcc_lo
	v_mad_u64_u32 v[18:19], null, s13, v24, v[15:16]
	v_and_b32_e32 v24, 0xffff, v44
	v_add_co_u32 v15, vcc_lo, s7, v11
	v_add_co_ci_u32_e32 v23, vcc_lo, s8, v12, vcc_lo
	v_mad_u64_u32 v[19:20], null, s12, v24, 0
	v_lshlrev_b64 v[11:12], 2, v[1:2]
	v_mov_b32_e32 v22, v18
	v_mul_lo_u32 v1, s24, v41
	v_mul_lo_u16 v18, 0xa9, v46
	v_add_co_u32 v11, vcc_lo, v15, v11
	v_mov_b32_e32 v15, v20
	v_lshlrev_b64 v[20:21], 2, v[21:22]
	v_add_co_ci_u32_e32 v12, vcc_lo, v23, v12, vcc_lo
	v_lshlrev_b64 v[22:23], 2, v[1:2]
	v_mad_u64_u32 v[24:25], null, s13, v24, v[15:16]
	v_sub_nc_u16 v25, v45, v18
	v_add_co_u32 v1, vcc_lo, s7, v20
	v_add_nc_u16 v45, v0, 0x618
	v_add_co_ci_u32_e32 v15, vcc_lo, s8, v21, vcc_lo
	v_and_b32_e32 v18, 0xffff, v25
	v_add_co_u32 v21, vcc_lo, v1, v22
	v_mul_u32_u24_sdwa v1, v45, v35 dst_sel:DWORD dst_unused:UNUSED_PAD src0_sel:WORD_0 src1_sel:DWORD
	v_add_co_ci_u32_e32 v22, vcc_lo, v15, v23, vcc_lo
	v_mov_b32_e32 v20, v24
	v_mad_u64_u32 v[23:24], null, s12, v18, 0
	s_clause 0x7
	global_load_dword v47, v[3:4], off
	global_load_dword v48, v[5:6], off
	;; [unrolled: 1-line block ×8, first 2 shown]
	v_lshrrev_b32_e32 v22, 19, v1
	v_add_nc_u16 v7, v0, 0x6b4
	v_add_nc_u16 v10, v0, 0x750
	v_mul_lo_u32 v1, s24, v43
	v_lshlrev_b64 v[3:4], 2, v[19:20]
	v_mov_b32_e32 v5, v24
	v_mul_lo_u16 v8, 0xa9, v22
	v_mul_u32_u24_sdwa v9, v7, v35 dst_sel:DWORD dst_unused:UNUSED_PAD src0_sel:WORD_0 src1_sel:DWORD
	v_mad_u64_u32 v[5:6], null, s13, v18, v[5:6]
	v_sub_nc_u16 v20, v45, v8
	v_lshrrev_b32_e32 v45, 19, v9
	v_mul_u32_u24_sdwa v6, v10, v35 dst_sel:DWORD dst_unused:UNUSED_PAD src0_sel:WORD_0 src1_sel:DWORD
	v_add_co_u32 v8, vcc_lo, s7, v3
	v_add_co_ci_u32_e32 v9, vcc_lo, s8, v4, vcc_lo
	v_lshlrev_b64 v[3:4], 2, v[1:2]
	v_mul_lo_u16 v1, 0xa9, v45
	v_lshrrev_b32_e32 v35, 19, v6
	v_and_b32_e32 v11, 0xffff, v20
	v_mov_b32_e32 v24, v5
	v_mad_u16 v20, v20, 12, v22
	v_sub_nc_u16 v54, v7, v1
	v_mul_lo_u16 v1, 0xa9, v35
	v_mad_u64_u32 v[5:6], null, s12, v11, 0
	v_add_co_u32 v3, vcc_lo, v8, v3
	v_and_b32_e32 v16, 0xffff, v54
	v_sub_nc_u16 v55, v10, v1
	v_lshlrev_b64 v[7:8], 2, v[23:24]
	v_add_co_ci_u32_e32 v4, vcc_lo, v9, v4, vcc_lo
	v_mad_u64_u32 v[9:10], null, s12, v16, 0
	v_and_b32_e32 v18, 0xffff, v55
	v_mul_lo_u32 v1, s24, v46
	v_mad_u64_u32 v[11:12], null, s13, v11, v[6:7]
	v_add_co_u32 v17, vcc_lo, s7, v7
	v_mad_u64_u32 v[12:13], null, s12, v18, 0
	v_mov_b32_e32 v7, v10
	v_lshlrev_b64 v[14:15], 2, v[1:2]
	v_add_co_ci_u32_e32 v19, vcc_lo, s8, v8, vcc_lo
	v_mul_lo_u32 v1, s24, v22
	v_mad_u64_u32 v[7:8], null, s13, v16, v[7:8]
	v_mov_b32_e32 v8, v13
	v_mov_b32_e32 v6, v11
	v_add_co_u32 v14, vcc_lo, v17, v14
	v_add_co_ci_u32_e32 v15, vcc_lo, v19, v15, vcc_lo
	v_mad_u64_u32 v[18:19], null, s13, v18, v[8:9]
	v_lshlrev_b64 v[5:6], 2, v[5:6]
	v_lshlrev_b64 v[16:17], 2, v[1:2]
	v_mul_lo_u32 v1, s24, v45
	v_mov_b32_e32 v10, v7
	v_mad_u16 v19, v25, 12, v46
	v_mad_u16 v22, v54, 12, v45
	v_add_co_u32 v7, vcc_lo, s7, v5
	v_mov_b32_e32 v13, v18
	v_add_co_ci_u32_e32 v8, vcc_lo, s8, v6, vcc_lo
	v_lshlrev_b64 v[5:6], 2, v[9:10]
	v_lshlrev_b64 v[9:10], 2, v[1:2]
	v_mul_lo_u32 v1, s24, v35
	v_add_co_u32 v7, vcc_lo, v7, v16
	v_lshlrev_b64 v[11:12], 2, v[12:13]
	v_add_co_ci_u32_e32 v8, vcc_lo, v8, v17, vcc_lo
	v_add_co_u32 v13, vcc_lo, s7, v5
	v_add_co_ci_u32_e32 v16, vcc_lo, s8, v6, vcc_lo
	v_add_co_u32 v11, vcc_lo, s7, v11
	v_lshlrev_b64 v[5:6], 2, v[1:2]
	v_add_co_ci_u32_e32 v12, vcc_lo, s8, v12, vcc_lo
	v_add_co_u32 v9, vcc_lo, v13, v9
	v_add_co_ci_u32_e32 v10, vcc_lo, v16, v10, vcc_lo
	v_add_co_u32 v5, vcc_lo, v11, v5
	v_add_co_ci_u32_e32 v6, vcc_lo, v12, v6, vcc_lo
	s_clause 0x4
	global_load_dword v3, v[3:4], off
	global_load_dword v4, v[14:15], off
	;; [unrolled: 1-line block ×5, first 2 shown]
	v_mul_u32_u24_e32 v1, 0x1556, v0
	v_mul_lo_u16 v6, v29, 12
	v_mul_lo_u16 v10, v31, 12
	v_mad_u16 v12, v32, 12, v28
	v_mad_u16 v13, v33, 12, v30
	v_lshrrev_b32_e32 v11, 16, v1
	v_or_b32_e32 v6, v6, v26
	v_or_b32_e32 v10, v10, v27
	v_mad_u16 v14, v36, 12, v34
	v_mad_u16 v16, v40, 12, v39
	v_mul_lo_u16 v1, v11, 12
	v_mad_u16 v17, v42, 12, v41
	v_mul_u32_u24_e32 v9, 48, v11
	v_mad_u16 v15, v38, 12, v37
	v_mad_u16 v18, v44, 12, v43
	v_sub_nc_u16 v1, v0, v1
	v_mad_u16 v23, v55, 12, v35
	v_and_b32_e32 v6, 0xffff, v6
	v_and_b32_e32 v10, 0xffff, v10
	;; [unrolled: 1-line block ×8, first 2 shown]
	v_lshlrev_b32_e32 v24, 2, v1
	v_and_b32_e32 v15, 0xffff, v15
	v_and_b32_e32 v18, 0xffff, v18
	;; [unrolled: 1-line block ×6, first 2 shown]
	v_add3_u32 v9, 0, v9, v24
	v_lshl_add_u32 v6, v6, 2, 0
	v_lshl_add_u32 v24, v10, 2, 0
	;; [unrolled: 1-line block ×13, first 2 shown]
	v_add_nc_u32_e32 v10, 0x400, v9
	v_mul_u32_u24_e32 v0, 0x1a5, v0
	v_add_co_u32 v1, s3, s3, v1
	s_waitcnt vmcnt(12)
	ds_write_b32 v6, v47
	s_waitcnt vmcnt(11)
	ds_write_b32 v24, v48
	;; [unrolled: 2-line block ×13, first 2 shown]
	s_waitcnt lgkmcnt(0)
	s_barrier
	buffer_gl0_inv
	ds_read2_b32 v[16:17], v9 offset1:156
	v_add_nc_u32_e32 v12, 0x1800, v9
	ds_read_b32 v22, v9 offset:7488
	ds_read2_b32 v[18:19], v10 offset0:56 offset1:212
	ds_read2_b32 v[20:21], v12 offset0:24 offset1:180
	v_add_nc_u32_e32 v13, 0x900, v9
	v_add_nc_u32_e32 v14, 0xe00, v9
	v_add_nc_u32_e32 v15, 0x1200, v9
	ds_read2_b32 v[5:6], v13 offset0:48 offset1:204
	ds_read2_b32 v[3:4], v14 offset0:40 offset1:196
	;; [unrolled: 1-line block ×3, first 2 shown]
	s_waitcnt lgkmcnt(0)
	s_barrier
	buffer_gl0_inv
	v_lshrrev_b32_e32 v0, 16, v0
	v_mul_lo_u16 v0, 0xa9, v0
	v_add_f16_e32 v23, v17, v16
	v_add_f16_sdwa v24, v17, v16 dst_sel:DWORD dst_unused:UNUSED_PAD src0_sel:WORD_1 src1_sel:WORD_1
	v_add_f16_e32 v25, v22, v17
	v_add_f16_sdwa v26, v22, v17 dst_sel:DWORD dst_unused:UNUSED_PAD src0_sel:WORD_1 src1_sel:WORD_1
	v_add_f16_e32 v28, v21, v18
	v_add_f16_sdwa v29, v21, v18 dst_sel:DWORD dst_unused:UNUSED_PAD src0_sel:WORD_1 src1_sel:WORD_1
	v_sub_f16_e32 v30, v18, v21
	v_sub_f16_sdwa v31, v18, v21 dst_sel:DWORD dst_unused:UNUSED_PAD src0_sel:WORD_1 src1_sel:WORD_1
	v_add_f16_e32 v23, v23, v18
	v_add_f16_sdwa v18, v24, v18 dst_sel:DWORD dst_unused:UNUSED_PAD src0_sel:DWORD src1_sel:WORD_1
	v_sub_f16_e32 v27, v17, v22
	v_sub_f16_sdwa v17, v17, v22 dst_sel:DWORD dst_unused:UNUSED_PAD src0_sel:WORD_1 src1_sel:WORD_1
	v_mul_f16_e32 v32, 0x3b15, v26
	v_add_f16_e32 v23, v23, v19
	v_add_f16_sdwa v18, v18, v19 dst_sel:DWORD dst_unused:UNUSED_PAD src0_sel:DWORD src1_sel:WORD_1
	v_mul_f16_e32 v34, 0x388b, v26
	v_mul_f16_e32 v24, 0xb770, v17
	v_mul_f16_e32 v33, 0xba95, v17
	v_add_f16_e32 v23, v23, v5
	v_add_f16_sdwa v18, v18, v5 dst_sel:DWORD dst_unused:UNUSED_PAD src0_sel:DWORD src1_sel:WORD_1
	v_mul_f16_e32 v35, 0xbbf1, v17
	v_mul_f16_e32 v36, 0x2fb7, v26
	;; [unrolled: 5-line block ×4, first 2 shown]
	v_fmamk_f16 v46, v25, 0x3b15, v24
	v_add_f16_e32 v23, v23, v4
	v_add_f16_sdwa v18, v18, v4 dst_sel:DWORD dst_unused:UNUSED_PAD src0_sel:DWORD src1_sel:WORD_1
	v_fmamk_f16 v47, v27, 0x3770, v32
	v_fma_f16 v24, v25, 0x3b15, -v24
	v_fmac_f16_e32 v32, 0xb770, v27
	v_add_f16_e32 v23, v23, v7
	v_add_f16_sdwa v18, v18, v7 dst_sel:DWORD dst_unused:UNUSED_PAD src0_sel:DWORD src1_sel:WORD_1
	v_fmamk_f16 v48, v25, 0x388b, v33
	v_fmamk_f16 v49, v27, 0x3a95, v34
	v_fma_f16 v33, v25, 0x388b, -v33
	v_fmac_f16_e32 v34, 0xba95, v27
	v_fmamk_f16 v50, v25, 0x2fb7, v35
	v_fmamk_f16 v51, v27, 0x3bf1, v36
	v_fma_f16 v35, v25, 0x2fb7, -v35
	v_fmac_f16_e32 v36, 0xbbf1, v27
	;; [unrolled: 4-line block ×4, first 2 shown]
	v_fmamk_f16 v56, v25, 0xbbc4, v17
	v_fma_f16 v17, v25, 0xbbc4, -v17
	v_fmamk_f16 v25, v27, 0x33a8, v26
	v_fmac_f16_e32 v26, 0xb3a8, v27
	v_add_f16_e32 v23, v23, v8
	v_add_f16_sdwa v18, v18, v8 dst_sel:DWORD dst_unused:UNUSED_PAD src0_sel:DWORD src1_sel:WORD_1
	v_add_f16_e32 v46, v46, v16
	v_add_f16_sdwa v47, v47, v16 dst_sel:DWORD dst_unused:UNUSED_PAD src0_sel:DWORD src1_sel:WORD_1
	;; [unrolled: 2-line block ×14, first 2 shown]
	v_mul_f16_e32 v41, 0xba95, v31
	v_mul_f16_e32 v42, 0x388b, v29
	;; [unrolled: 1-line block ×3, first 2 shown]
	v_add_f16_e32 v16, v16, v21
	v_add_f16_sdwa v18, v18, v21 dst_sel:DWORD dst_unused:UNUSED_PAD src0_sel:DWORD src1_sel:WORD_1
	v_mul_f16_e32 v44, 0xb5ac, v29
	v_fmamk_f16 v27, v28, 0x388b, v41
	v_fmamk_f16 v23, v30, 0x3a95, v42
	v_add_f16_e32 v16, v16, v22
	v_add_f16_sdwa v18, v18, v22 dst_sel:WORD_1 dst_unused:UNUSED_PAD src0_sel:DWORD src1_sel:WORD_1
	v_fma_f16 v41, v28, 0x388b, -v41
	v_fmac_f16_e32 v42, 0xba95, v30
	v_add_f16_e32 v27, v27, v46
	v_fmamk_f16 v46, v30, 0x3b7b, v44
	v_or_b32_sdwa v16, v18, v16 dst_sel:DWORD dst_unused:UNUSED_PAD src0_sel:DWORD src1_sel:WORD_0
	v_fma_f16 v18, v28, 0xb5ac, -v43
	v_fmac_f16_e32 v44, 0xbb7b, v30
	v_mul_f16_e32 v45, 0xb3a8, v31
	v_add_f16_e32 v22, v23, v47
	v_add_f16_e32 v23, v41, v24
	;; [unrolled: 1-line block ×3, first 2 shown]
	v_mul_f16_e32 v42, 0xbbc4, v29
	v_add_f16_e32 v18, v18, v33
	v_add_f16_e32 v33, v44, v34
	v_mul_f16_e32 v34, 0x394e, v31
	v_fmamk_f16 v21, v28, 0xb5ac, v43
	v_fmamk_f16 v41, v28, 0xbbc4, v45
	;; [unrolled: 1-line block ×3, first 2 shown]
	v_fma_f16 v44, v28, 0xbbc4, -v45
	v_fmac_f16_e32 v42, 0xb3a8, v30
	v_fmamk_f16 v45, v28, 0xb9fd, v34
	v_add_f16_e32 v21, v21, v48
	v_add_f16_e32 v32, v46, v49
	v_mul_f16_e32 v46, 0xb9fd, v29
	v_add_f16_e32 v36, v42, v36
	v_add_f16_e32 v42, v45, v52
	v_mul_f16_e32 v45, 0x3bf1, v31
	v_add_f16_e32 v35, v44, v35
	v_fmamk_f16 v44, v30, 0xb94e, v46
	v_fma_f16 v34, v28, 0xb9fd, -v34
	v_mul_f16_e32 v47, 0x2fb7, v29
	v_fmamk_f16 v48, v28, 0x2fb7, v45
	v_fma_f16 v45, v28, 0x2fb7, -v45
	v_fmac_f16_e32 v46, 0x394e, v30
	v_mul_f16_e32 v31, 0x3770, v31
	v_add_f16_e32 v41, v41, v50
	v_add_f16_e32 v43, v43, v51
	;; [unrolled: 1-line block ×3, first 2 shown]
	v_sub_f16_sdwa v45, v19, v20 dst_sel:DWORD dst_unused:UNUSED_PAD src0_sel:WORD_1 src1_sel:WORD_1
	v_add_f16_e32 v34, v34, v37
	v_fmamk_f16 v37, v30, 0xbbf1, v47
	v_add_f16_e32 v38, v46, v38
	v_add_f16_e32 v46, v48, v54
	v_fmac_f16_e32 v47, 0x3bf1, v30
	v_fmamk_f16 v48, v28, 0x3b15, v31
	v_mul_f16_e32 v29, 0x3b15, v29
	v_add_f16_e32 v49, v20, v19
	v_mul_f16_e32 v50, 0xbbf1, v45
	v_add_f16_sdwa v51, v20, v19 dst_sel:DWORD dst_unused:UNUSED_PAD src0_sel:WORD_1 src1_sel:WORD_1
	v_add_f16_e32 v40, v47, v40
	v_add_f16_e32 v47, v48, v56
	v_fmamk_f16 v48, v30, 0xb770, v29
	v_fma_f16 v28, v28, 0x3b15, -v31
	v_fmac_f16_e32 v29, 0x3770, v30
	v_sub_f16_e32 v19, v19, v20
	v_fmamk_f16 v20, v49, 0x2fb7, v50
	v_mul_f16_e32 v30, 0x2fb7, v51
	v_add_f16_e32 v17, v28, v17
	v_mul_f16_e32 v28, 0xb3a8, v45
	v_add_f16_e32 v26, v29, v26
	v_add_f16_e32 v20, v20, v27
	v_fmamk_f16 v27, v19, 0x3bf1, v30
	v_fma_f16 v29, v49, 0x2fb7, -v50
	v_fmac_f16_e32 v30, 0xbbf1, v19
	v_mul_f16_e32 v31, 0xbbc4, v51
	v_add_f16_e32 v25, v48, v25
	v_add_f16_e32 v22, v27, v22
	v_fmamk_f16 v27, v49, 0xbbc4, v28
	v_add_f16_e32 v23, v29, v23
	v_add_f16_e32 v24, v30, v24
	v_fmamk_f16 v29, v19, 0x33a8, v31
	v_mul_f16_e32 v30, 0x3b7b, v45
	v_add_f16_e32 v21, v27, v21
	v_fma_f16 v27, v49, 0xbbc4, -v28
	v_fmac_f16_e32 v31, 0xb3a8, v19
	v_add_f16_e32 v28, v29, v32
	v_fmamk_f16 v29, v49, 0xb5ac, v30
	v_mul_f16_e32 v32, 0xb5ac, v51
	v_add_f16_e32 v18, v27, v18
	v_add_f16_e32 v27, v31, v33
	v_mul_f16_e32 v31, 0x3770, v45
	v_add_f16_e32 v29, v29, v41
	v_fmamk_f16 v33, v19, 0xbb7b, v32
	v_fma_f16 v30, v49, 0xb5ac, -v30
	v_fmac_f16_e32 v32, 0x3b7b, v19
	v_fmamk_f16 v41, v49, 0x3b15, v31
	v_mul_f16_e32 v48, 0x3b15, v51
	v_add_f16_e32 v44, v44, v53
	v_add_f16_e32 v30, v30, v35
	;; [unrolled: 1-line block ×4, first 2 shown]
	v_fmamk_f16 v36, v19, 0xb770, v48
	v_mul_f16_e32 v41, 0xba95, v45
	v_fma_f16 v31, v49, 0x3b15, -v31
	v_mul_f16_e32 v42, 0x388b, v51
	v_add_f16_e32 v37, v37, v55
	v_add_f16_e32 v33, v33, v43
	;; [unrolled: 1-line block ×3, first 2 shown]
	v_fmamk_f16 v43, v49, 0x388b, v41
	v_add_f16_e32 v31, v31, v34
	v_fmamk_f16 v34, v19, 0x3a95, v42
	v_mul_f16_e32 v44, 0xb94e, v45
	v_fma_f16 v41, v49, 0x388b, -v41
	v_fmac_f16_e32 v48, 0x3770, v19
	v_add_f16_e32 v43, v43, v46
	v_add_f16_e32 v34, v34, v37
	v_fmamk_f16 v37, v49, 0xb9fd, v44
	v_add_f16_e32 v39, v41, v39
	v_sub_f16_sdwa v41, v5, v8 dst_sel:DWORD dst_unused:UNUSED_PAD src0_sel:WORD_1 src1_sel:WORD_1
	v_add_f16_e32 v38, v48, v38
	v_fmac_f16_e32 v42, 0xba95, v19
	v_mul_f16_e32 v45, 0xb9fd, v51
	v_add_f16_e32 v37, v37, v47
	v_add_f16_e32 v46, v8, v5
	v_mul_f16_e32 v47, 0xbb7b, v41
	v_add_f16_sdwa v48, v8, v5 dst_sel:DWORD dst_unused:UNUSED_PAD src0_sel:WORD_1 src1_sel:WORD_1
	v_add_f16_e32 v40, v42, v40
	v_fmamk_f16 v42, v19, 0x394e, v45
	v_fmac_f16_e32 v45, 0xb94e, v19
	v_sub_f16_e32 v5, v5, v8
	v_fmamk_f16 v8, v46, 0xb5ac, v47
	v_mul_f16_e32 v19, 0xb5ac, v48
	v_fma_f16 v44, v49, 0xb9fd, -v44
	v_add_f16_e32 v25, v42, v25
	v_mul_f16_e32 v42, 0x394e, v41
	v_add_f16_e32 v8, v8, v20
	v_fmamk_f16 v20, v5, 0x3b7b, v19
	v_add_f16_e32 v17, v44, v17
	v_add_f16_e32 v26, v45, v26
	v_fma_f16 v44, v46, 0xb5ac, -v47
	v_fmac_f16_e32 v19, 0xbb7b, v5
	v_mul_f16_e32 v45, 0xb9fd, v48
	v_add_f16_e32 v20, v20, v22
	v_fmamk_f16 v22, v46, 0xb9fd, v42
	v_add_f16_e32 v23, v44, v23
	v_add_f16_e32 v19, v19, v24
	v_fmamk_f16 v24, v5, 0xb94e, v45
	v_mul_f16_e32 v44, 0x3770, v41
	v_add_f16_e32 v21, v22, v21
	v_fma_f16 v22, v46, 0xb9fd, -v42
	v_fmac_f16_e32 v45, 0x394e, v5
	v_add_f16_e32 v24, v24, v28
	v_fmamk_f16 v28, v46, 0x3b15, v44
	v_mul_f16_e32 v42, 0x3b15, v48
	v_add_f16_e32 v18, v22, v18
	v_add_f16_e32 v22, v45, v27
	v_mul_f16_e32 v27, 0xbbf1, v41
	v_add_f16_e32 v28, v28, v29
	v_fmamk_f16 v29, v5, 0xb770, v42
	v_fmac_f16_e32 v42, 0x3770, v5
	v_mul_f16_e32 v47, 0x2fb7, v48
	v_fmamk_f16 v45, v46, 0x2fb7, v27
	v_fma_f16 v44, v46, 0x3b15, -v44
	v_add_f16_e32 v29, v29, v33
	v_add_f16_e32 v32, v42, v32
	v_mul_f16_e32 v42, 0x33a8, v41
	v_add_f16_e32 v33, v45, v35
	v_fmamk_f16 v35, v5, 0x3bf1, v47
	v_add_f16_e32 v30, v44, v30
	v_fma_f16 v27, v46, 0x2fb7, -v27
	v_mul_f16_e32 v44, 0xbbc4, v48
	v_fmac_f16_e32 v47, 0xbbf1, v5
	v_add_f16_e32 v35, v35, v36
	v_fmamk_f16 v36, v46, 0xbbc4, v42
	v_fma_f16 v42, v46, 0xbbc4, -v42
	v_add_f16_e32 v27, v27, v31
	v_fmamk_f16 v31, v5, 0xb3a8, v44
	v_mul_f16_e32 v41, 0x3a95, v41
	v_fmac_f16_e32 v44, 0x33a8, v5
	v_add_f16_e32 v39, v42, v39
	v_sub_f16_sdwa v42, v6, v7 dst_sel:DWORD dst_unused:UNUSED_PAD src0_sel:WORD_1 src1_sel:WORD_1
	v_add_f16_e32 v38, v47, v38
	v_add_f16_e32 v36, v36, v43
	;; [unrolled: 1-line block ×3, first 2 shown]
	v_fmamk_f16 v34, v46, 0x388b, v41
	v_mul_f16_e32 v43, 0x388b, v48
	v_add_f16_e32 v40, v44, v40
	v_add_f16_e32 v44, v7, v6
	v_mul_f16_e32 v45, 0xb94e, v42
	v_add_f16_sdwa v47, v7, v6 dst_sel:DWORD dst_unused:UNUSED_PAD src0_sel:WORD_1 src1_sel:WORD_1
	v_add_f16_e32 v34, v34, v37
	v_fmamk_f16 v37, v5, 0xba95, v43
	v_fmac_f16_e32 v43, 0x3a95, v5
	v_sub_f16_e32 v5, v6, v7
	v_fmamk_f16 v6, v44, 0xb9fd, v45
	v_mul_f16_e32 v7, 0xb9fd, v47
	v_fma_f16 v41, v46, 0x388b, -v41
	v_add_f16_e32 v25, v37, v25
	v_mul_f16_e32 v37, 0x3bf1, v42
	v_add_f16_e32 v6, v6, v8
	v_fmamk_f16 v8, v5, 0x394e, v7
	v_add_f16_e32 v17, v41, v17
	v_add_f16_e32 v26, v43, v26
	v_fma_f16 v41, v44, 0xb9fd, -v45
	v_fmac_f16_e32 v7, 0xb94e, v5
	v_mul_f16_e32 v43, 0x2fb7, v47
	v_add_f16_e32 v8, v8, v20
	v_fmamk_f16 v20, v44, 0x2fb7, v37
	v_add_f16_e32 v23, v41, v23
	v_add_f16_e32 v7, v7, v19
	v_fmamk_f16 v19, v5, 0xbbf1, v43
	v_mul_f16_e32 v41, 0xba95, v42
	v_add_f16_e32 v20, v20, v21
	v_fma_f16 v21, v44, 0x2fb7, -v37
	v_fmac_f16_e32 v43, 0x3bf1, v5
	v_add_f16_e32 v19, v19, v24
	v_fmamk_f16 v24, v44, 0x388b, v41
	v_mul_f16_e32 v37, 0x388b, v47
	v_add_f16_e32 v18, v21, v18
	v_add_f16_e32 v21, v43, v22
	v_mul_f16_e32 v22, 0x33a8, v42
	v_add_f16_e32 v24, v24, v28
	v_fmamk_f16 v28, v5, 0x3a95, v37
	v_fma_f16 v41, v44, 0x388b, -v41
	v_fmac_f16_e32 v37, 0xba95, v5
	v_fmamk_f16 v43, v44, 0xbbc4, v22
	v_mul_f16_e32 v45, 0xbbc4, v47
	v_add_f16_e32 v28, v28, v29
	v_add_f16_e32 v29, v41, v30
	;; [unrolled: 1-line block ×4, first 2 shown]
	v_fmamk_f16 v33, v5, 0xb3a8, v45
	v_mul_f16_e32 v37, 0x3770, v42
	v_fma_f16 v22, v44, 0xbbc4, -v22
	v_mul_f16_e32 v41, 0x3b15, v47
	v_fmac_f16_e32 v45, 0x33a8, v5
	v_add_f16_e32 v33, v33, v35
	v_fmamk_f16 v35, v44, 0x3b15, v37
	v_add_f16_e32 v22, v22, v27
	v_fmamk_f16 v27, v5, 0xb770, v41
	v_mul_f16_e32 v42, 0xbb7b, v42
	v_fmac_f16_e32 v41, 0x3770, v5
	v_add_f16_e32 v35, v35, v36
	v_fma_f16 v36, v44, 0x3b15, -v37
	v_add_f16_e32 v38, v45, v38
	v_add_f16_e32 v27, v27, v31
	v_fmamk_f16 v31, v44, 0xb5ac, v42
	v_mul_f16_e32 v37, 0xb5ac, v47
	v_add_f16_e32 v36, v36, v39
	v_sub_f16_sdwa v39, v3, v4 dst_sel:DWORD dst_unused:UNUSED_PAD src0_sel:WORD_1 src1_sel:WORD_1
	v_add_f16_e32 v40, v41, v40
	v_add_f16_e32 v41, v4, v3
	v_add_f16_sdwa v45, v4, v3 dst_sel:DWORD dst_unused:UNUSED_PAD src0_sel:WORD_1 src1_sel:WORD_1
	v_add_f16_e32 v31, v31, v34
	v_mul_f16_e32 v43, 0xb3a8, v39
	v_fmamk_f16 v34, v5, 0x3b7b, v37
	v_fmac_f16_e32 v37, 0xbb7b, v5
	v_sub_f16_e32 v3, v3, v4
	v_mul_f16_e32 v5, 0xbbc4, v45
	v_fmamk_f16 v4, v41, 0xbbc4, v43
	v_fma_f16 v42, v44, 0xb5ac, -v42
	v_add_f16_e32 v25, v34, v25
	v_mul_f16_e32 v34, 0x3770, v39
	v_add_f16_e32 v26, v37, v26
	v_add_f16_e32 v4, v4, v6
	v_fmamk_f16 v6, v3, 0x33a8, v5
	v_add_f16_e32 v17, v42, v17
	v_fma_f16 v37, v41, 0xbbc4, -v43
	v_fmac_f16_e32 v5, 0xb3a8, v3
	v_mul_f16_e32 v42, 0x3b15, v45
	v_add_f16_e32 v6, v6, v8
	v_fmamk_f16 v8, v41, 0x3b15, v34
	v_add_f16_e32 v23, v37, v23
	v_add_f16_e32 v5, v5, v7
	v_fmamk_f16 v7, v3, 0xb770, v42
	v_mul_f16_e32 v37, 0xb94e, v39
	v_add_f16_e32 v8, v8, v20
	v_fma_f16 v20, v41, 0x3b15, -v34
	v_fmac_f16_e32 v42, 0x3770, v3
	v_add_f16_e32 v7, v7, v19
	v_fmamk_f16 v19, v41, 0xb9fd, v37
	v_mul_f16_e32 v34, 0xb9fd, v45
	v_add_f16_e32 v18, v20, v18
	v_add_f16_e32 v20, v42, v21
	v_mul_f16_e32 v21, 0x3a95, v39
	v_add_f16_e32 v19, v19, v24
	v_fmamk_f16 v24, v3, 0x394e, v34
	v_fma_f16 v37, v41, 0xb9fd, -v37
	v_fmac_f16_e32 v34, 0xb94e, v3
	v_fmamk_f16 v42, v41, 0x388b, v21
	v_mul_f16_e32 v43, 0x388b, v45
	v_add_f16_e32 v24, v24, v28
	v_add_f16_e32 v28, v37, v29
	;; [unrolled: 1-line block ×4, first 2 shown]
	v_fmamk_f16 v32, v3, 0xba95, v43
	v_mul_f16_e32 v34, 0xbb7b, v39
	v_fma_f16 v21, v41, 0x388b, -v21
	v_fmac_f16_e32 v43, 0x3a95, v3
	v_mul_f16_e32 v37, 0xb5ac, v45
	v_add_f16_e32 v32, v32, v33
	v_fmamk_f16 v33, v41, 0xb5ac, v34
	v_fma_f16 v34, v41, 0xb5ac, -v34
	v_add_f16_e32 v21, v21, v22
	v_add_f16_e32 v22, v43, v38
	v_fmamk_f16 v38, v3, 0x3b7b, v37
	v_add_f16_e32 v33, v33, v35
	v_mul_f16_e32 v35, 0x3bf1, v39
	v_mul_f16_e32 v39, 0x2fb7, v45
	v_add_f16_e32 v34, v34, v36
	v_add_f16_e32 v27, v38, v27
	v_fmac_f16_e32 v37, 0xbb7b, v3
	v_fmamk_f16 v36, v41, 0x2fb7, v35
	v_fmamk_f16 v38, v3, 0xbbf1, v39
	v_fma_f16 v35, v41, 0x2fb7, -v35
	v_fmac_f16_e32 v39, 0x3bf1, v3
	v_pack_b32_f16 v4, v4, v6
	v_add_f16_e32 v3, v36, v31
	v_mul_lo_u16 v31, v11, 20
	v_add_f16_e32 v17, v35, v17
	v_mad_u32_u24 v35, 0x240, v11, v9
	v_pack_b32_f16 v6, v8, v7
	v_add_f16_e32 v25, v38, v25
	v_lshrrev_b16 v8, 8, v31
	v_pack_b32_f16 v7, v19, v24
	ds_write2_b32 v35, v16, v4 offset1:12
	v_pack_b32_f16 v19, v30, v32
	v_pack_b32_f16 v24, v33, v27
	v_mul_lo_u16 v4, v8, 13
	v_add_f16_e32 v26, v39, v26
	ds_write2_b32 v35, v6, v7 offset0:24 offset1:36
	ds_write2_b32 v35, v19, v24 offset0:48 offset1:60
	v_pack_b32_f16 v6, v3, v25
	v_sub_nc_u16 v3, v11, v4
	v_mov_b32_e32 v4, 12
	v_add_f16_e32 v37, v37, v40
	v_pack_b32_f16 v7, v17, v26
	v_pack_b32_f16 v11, v21, v22
	;; [unrolled: 1-line block ×3, first 2 shown]
	v_mul_u32_u24_sdwa v4, v3, v4 dst_sel:DWORD dst_unused:UNUSED_PAD src0_sel:BYTE_0 src1_sel:DWORD
	v_pack_b32_f16 v8, v34, v37
	v_pack_b32_f16 v17, v18, v20
	;; [unrolled: 1-line block ×3, first 2 shown]
	ds_write2_b32 v35, v6, v7 offset0:72 offset1:84
	ds_write2_b32 v35, v8, v11 offset0:96 offset1:108
	;; [unrolled: 1-line block ×3, first 2 shown]
	v_lshlrev_b32_e32 v8, 2, v4
	v_add_nc_u32_sdwa v0, v3, v0 dst_sel:DWORD dst_unused:UNUSED_PAD src0_sel:BYTE_0 src1_sel:WORD_0
	ds_write_b32 v35, v5 offset:576
	s_waitcnt lgkmcnt(0)
	s_barrier
	buffer_gl0_inv
	s_clause 0x2
	global_load_dwordx4 v[4:7], v8, s[22:23]
	global_load_dwordx4 v[16:19], v8, s[22:23] offset:16
	global_load_dwordx4 v[20:23], v8, s[22:23] offset:32
	ds_read2_b32 v[24:25], v13 offset0:48 offset1:204
	ds_read2_b32 v[13:14], v14 offset0:40 offset1:196
	;; [unrolled: 1-line block ×3, first 2 shown]
	ds_read2_b32 v[28:29], v9 offset1:156
	ds_read2_b32 v[11:12], v12 offset0:24 offset1:180
	ds_read2_b32 v[30:31], v10 offset0:56 offset1:212
	ds_read_b32 v10, v9 offset:7488
	ds_read_u16 v8, v9 offset:2498
	s_waitcnt lgkmcnt(7)
	v_lshrrev_b32_e32 v15, 16, v25
	s_waitcnt lgkmcnt(6)
	v_lshrrev_b32_e32 v32, 16, v13
	v_lshrrev_b32_e32 v33, 16, v14
	s_waitcnt lgkmcnt(4)
	v_lshrrev_b32_e32 v9, 16, v29
	;; [unrolled: 3-line block ×3, first 2 shown]
	v_lshrrev_b32_e32 v44, 16, v31
	v_lshrrev_b32_e32 v35, 16, v27
	;; [unrolled: 1-line block ×4, first 2 shown]
	s_waitcnt lgkmcnt(1)
	v_lshrrev_b32_e32 v39, 16, v10
	s_waitcnt vmcnt(2)
	v_mul_f16_sdwa v40, v4, v9 dst_sel:DWORD dst_unused:UNUSED_PAD src0_sel:WORD_1 src1_sel:DWORD
	v_mul_f16_sdwa v41, v4, v29 dst_sel:DWORD dst_unused:UNUSED_PAD src0_sel:WORD_1 src1_sel:DWORD
	;; [unrolled: 1-line block ×4, first 2 shown]
	v_fmac_f16_e32 v40, v4, v29
	v_fma_f16 v4, v4, v9, -v41
	v_fmac_f16_e32 v42, v5, v30
	v_fma_f16 v29, v5, v37, -v43
	v_mul_f16_sdwa v30, v6, v44 dst_sel:DWORD dst_unused:UNUSED_PAD src0_sel:WORD_1 src1_sel:DWORD
	v_mul_f16_sdwa v5, v6, v31 dst_sel:DWORD dst_unused:UNUSED_PAD src0_sel:WORD_1 src1_sel:DWORD
	s_waitcnt lgkmcnt(0)
	v_mul_f16_sdwa v37, v8, v7 dst_sel:DWORD dst_unused:UNUSED_PAD src0_sel:DWORD src1_sel:WORD_1
	v_mul_f16_sdwa v41, v7, v24 dst_sel:DWORD dst_unused:UNUSED_PAD src0_sel:WORD_1 src1_sel:DWORD
	s_waitcnt vmcnt(1)
	v_mul_f16_sdwa v9, v15, v16 dst_sel:DWORD dst_unused:UNUSED_PAD src0_sel:DWORD src1_sel:WORD_1
	v_fmac_f16_e32 v30, v6, v31
	v_fma_f16 v31, v6, v44, -v5
	v_fmac_f16_e32 v37, v7, v24
	v_fma_f16 v24, v8, v7, -v41
	v_mul_f16_sdwa v5, v32, v17 dst_sel:DWORD dst_unused:UNUSED_PAD src0_sel:DWORD src1_sel:WORD_1
	v_add_f16_e32 v7, v40, v28
	v_add_f16_sdwa v8, v4, v28 dst_sel:DWORD dst_unused:UNUSED_PAD src0_sel:DWORD src1_sel:WORD_1
	v_fmac_f16_e32 v9, v25, v16
	v_mul_f16_sdwa v6, v25, v16 dst_sel:DWORD dst_unused:UNUSED_PAD src0_sel:DWORD src1_sel:WORD_1
	v_mul_f16_sdwa v25, v13, v17 dst_sel:DWORD dst_unused:UNUSED_PAD src0_sel:DWORD src1_sel:WORD_1
	v_fmac_f16_e32 v5, v13, v17
	v_add_f16_e32 v13, v7, v42
	v_add_f16_e32 v8, v8, v29
	v_fma_f16 v15, v15, v16, -v6
	v_fma_f16 v7, v32, v17, -v25
	v_mul_f16_sdwa v6, v33, v18 dst_sel:DWORD dst_unused:UNUSED_PAD src0_sel:DWORD src1_sel:WORD_1
	v_add_f16_e32 v13, v13, v30
	v_add_f16_e32 v17, v8, v31
	v_mul_f16_sdwa v16, v14, v18 dst_sel:DWORD dst_unused:UNUSED_PAD src0_sel:DWORD src1_sel:WORD_1
	v_mul_f16_sdwa v25, v34, v19 dst_sel:DWORD dst_unused:UNUSED_PAD src0_sel:DWORD src1_sel:WORD_1
	v_fmac_f16_e32 v6, v14, v18
	v_add_f16_e32 v13, v13, v37
	v_add_f16_e32 v14, v17, v24
	v_fma_f16 v8, v33, v18, -v16
	v_mul_f16_sdwa v16, v26, v19 dst_sel:DWORD dst_unused:UNUSED_PAD src0_sel:DWORD src1_sel:WORD_1
	s_waitcnt vmcnt(0)
	v_mul_f16_sdwa v17, v35, v20 dst_sel:DWORD dst_unused:UNUSED_PAD src0_sel:DWORD src1_sel:WORD_1
	v_add_f16_e32 v13, v13, v9
	v_add_f16_e32 v14, v14, v15
	v_mul_f16_sdwa v18, v27, v20 dst_sel:DWORD dst_unused:UNUSED_PAD src0_sel:DWORD src1_sel:WORD_1
	v_fmac_f16_e32 v25, v26, v19
	v_fma_f16 v16, v34, v19, -v16
	v_add_f16_e32 v13, v13, v5
	v_add_f16_e32 v14, v14, v7
	v_fmac_f16_e32 v17, v27, v20
	v_fma_f16 v18, v35, v20, -v18
	v_mul_f16_sdwa v19, v36, v21 dst_sel:DWORD dst_unused:UNUSED_PAD src0_sel:DWORD src1_sel:WORD_1
	v_mul_f16_sdwa v20, v11, v21 dst_sel:DWORD dst_unused:UNUSED_PAD src0_sel:DWORD src1_sel:WORD_1
	v_add_f16_e32 v13, v13, v6
	v_add_f16_e32 v14, v14, v8
	v_mul_f16_sdwa v26, v38, v22 dst_sel:DWORD dst_unused:UNUSED_PAD src0_sel:DWORD src1_sel:WORD_1
	v_fmac_f16_e32 v19, v11, v21
	v_fma_f16 v11, v36, v21, -v20
	v_add_f16_e32 v13, v13, v25
	v_add_f16_e32 v14, v14, v16
	v_mul_f16_sdwa v20, v10, v23 dst_sel:DWORD dst_unused:UNUSED_PAD src0_sel:DWORD src1_sel:WORD_1
	v_fmac_f16_e32 v26, v12, v22
	v_mul_f16_sdwa v12, v12, v22 dst_sel:DWORD dst_unused:UNUSED_PAD src0_sel:DWORD src1_sel:WORD_1
	v_add_f16_e32 v13, v13, v17
	v_add_f16_e32 v14, v14, v18
	v_mul_f16_sdwa v21, v39, v23 dst_sel:DWORD dst_unused:UNUSED_PAD src0_sel:DWORD src1_sel:WORD_1
	v_fma_f16 v20, v39, v23, -v20
	v_fma_f16 v12, v38, v22, -v12
	v_add_f16_e32 v13, v13, v19
	v_add_f16_e32 v14, v14, v11
	v_fmac_f16_e32 v21, v10, v23
	v_sub_f16_e32 v10, v4, v20
	v_add_f16_e32 v27, v4, v20
	v_add_f16_e32 v13, v13, v26
	;; [unrolled: 1-line block ×4, first 2 shown]
	v_mul_f16_e32 v23, 0xb770, v10
	v_sub_f16_e32 v51, v29, v12
	v_add_f16_e32 v4, v13, v21
	v_add_f16_sdwa v13, v14, v20 dst_sel:WORD_1 dst_unused:UNUSED_PAD src0_sel:DWORD src1_sel:DWORD
	v_sub_f16_e32 v14, v40, v21
	v_fmamk_f16 v20, v22, 0x3b15, v23
	v_mul_f16_e32 v21, 0x3b15, v27
	v_mul_f16_e32 v32, 0xba95, v10
	;; [unrolled: 1-line block ×11, first 2 shown]
	v_add_f16_e32 v53, v42, v26
	v_mul_f16_e32 v54, 0xba95, v51
	v_add_f16_e32 v12, v29, v12
	v_or_b32_sdwa v4, v13, v4 dst_sel:DWORD dst_unused:UNUSED_PAD src0_sel:DWORD src1_sel:WORD_0
	v_add_f16_e32 v13, v20, v28
	v_fmamk_f16 v20, v14, 0x3770, v21
	v_fma_f16 v23, v22, 0x3b15, -v23
	v_fmac_f16_e32 v21, 0xb770, v14
	v_fmamk_f16 v34, v22, 0x388b, v32
	v_fmamk_f16 v35, v14, 0x3a95, v33
	v_fma_f16 v32, v22, 0x388b, -v32
	v_fmac_f16_e32 v33, 0xba95, v14
	v_fmamk_f16 v38, v22, 0x2fb7, v36
	;; [unrolled: 4-line block ×5, first 2 shown]
	v_fmamk_f16 v52, v14, 0x33a8, v27
	v_fma_f16 v10, v22, 0xbbc4, -v10
	v_fmac_f16_e32 v27, 0xb3a8, v14
	v_sub_f16_e32 v14, v42, v26
	v_fmamk_f16 v22, v53, 0x388b, v54
	v_mul_f16_e32 v26, 0x388b, v12
	v_add_f16_sdwa v20, v20, v28 dst_sel:DWORD dst_unused:UNUSED_PAD src0_sel:DWORD src1_sel:WORD_1
	v_add_f16_e32 v23, v23, v28
	v_add_f16_sdwa v21, v21, v28 dst_sel:DWORD dst_unused:UNUSED_PAD src0_sel:DWORD src1_sel:WORD_1
	v_add_f16_e32 v34, v34, v28
	;; [unrolled: 2-line block ×12, first 2 shown]
	v_fmamk_f16 v22, v14, 0x3a95, v26
	v_mul_f16_e32 v28, 0xbb7b, v51
	v_fma_f16 v42, v53, 0x388b, -v54
	v_fmac_f16_e32 v26, 0xba95, v14
	v_mul_f16_e32 v52, 0xb5ac, v12
	v_add_f16_e32 v20, v22, v20
	v_fmamk_f16 v22, v53, 0xb5ac, v28
	v_add_f16_e32 v23, v42, v23
	v_add_f16_e32 v21, v26, v21
	v_fmamk_f16 v26, v14, 0x3b7b, v52
	v_mul_f16_e32 v42, 0xb3a8, v51
	v_add_f16_e32 v22, v22, v34
	v_fma_f16 v28, v53, 0xb5ac, -v28
	v_fmac_f16_e32 v52, 0xbb7b, v14
	v_add_f16_e32 v26, v26, v35
	v_fmamk_f16 v34, v53, 0xbbc4, v42
	v_mul_f16_e32 v35, 0xbbc4, v12
	v_add_f16_e32 v28, v28, v32
	v_add_f16_e32 v32, v52, v33
	v_mul_f16_e32 v33, 0x394e, v51
	v_add_f16_e32 v34, v34, v38
	v_fmamk_f16 v38, v14, 0x33a8, v35
	v_fma_f16 v42, v53, 0xbbc4, -v42
	v_mul_f16_e32 v54, 0xb9fd, v12
	v_fmac_f16_e32 v35, 0xb3a8, v14
	v_fmamk_f16 v52, v53, 0xb9fd, v33
	v_add_f16_e32 v38, v38, v41
	v_add_f16_e32 v36, v42, v36
	v_fmamk_f16 v41, v14, 0xb94e, v54
	v_mul_f16_e32 v42, 0x3bf1, v51
	v_add_f16_e32 v35, v35, v39
	v_add_f16_e32 v39, v52, v43
	v_fma_f16 v33, v53, 0xb9fd, -v33
	v_mul_f16_e32 v43, 0x2fb7, v12
	v_add_f16_e32 v41, v41, v45
	v_fmamk_f16 v45, v53, 0x2fb7, v42
	v_mul_f16_e32 v51, 0x3770, v51
	v_fma_f16 v42, v53, 0x2fb7, -v42
	v_add_f16_e32 v33, v33, v40
	v_fmamk_f16 v40, v14, 0xbbf1, v43
	v_add_f16_e32 v45, v45, v48
	v_fmac_f16_e32 v43, 0x3bf1, v14
	v_fmamk_f16 v48, v53, 0x3b15, v51
	v_add_f16_e32 v42, v42, v46
	v_sub_f16_e32 v46, v31, v11
	v_add_f16_e32 v40, v40, v49
	v_mul_f16_e32 v12, 0x3b15, v12
	v_add_f16_e32 v43, v43, v47
	v_add_f16_e32 v47, v48, v50
	v_add_f16_e32 v49, v30, v19
	v_mul_f16_e32 v50, 0xbbf1, v46
	v_add_f16_e32 v11, v31, v11
	v_fmac_f16_e32 v54, 0x394e, v14
	v_fmamk_f16 v48, v14, 0xb770, v12
	v_fmac_f16_e32 v12, 0x3770, v14
	v_sub_f16_e32 v14, v30, v19
	v_fmamk_f16 v19, v49, 0x2fb7, v50
	v_mul_f16_e32 v30, 0x2fb7, v11
	v_fma_f16 v31, v53, 0x3b15, -v51
	v_add_f16_e32 v12, v12, v27
	v_mul_f16_e32 v27, 0xb3a8, v46
	v_add_f16_e32 v13, v19, v13
	v_fmamk_f16 v19, v14, 0x3bf1, v30
	v_add_f16_e32 v29, v48, v29
	v_add_f16_e32 v10, v31, v10
	v_fma_f16 v31, v49, 0x2fb7, -v50
	v_fmac_f16_e32 v30, 0xbbf1, v14
	v_mul_f16_e32 v48, 0xbbc4, v11
	v_add_f16_e32 v19, v19, v20
	v_fmamk_f16 v20, v49, 0xbbc4, v27
	v_add_f16_e32 v23, v31, v23
	v_add_f16_e32 v21, v30, v21
	v_fmamk_f16 v30, v14, 0x33a8, v48
	v_mul_f16_e32 v31, 0x3b7b, v46
	v_add_f16_e32 v20, v20, v22
	v_fma_f16 v22, v49, 0xbbc4, -v27
	v_fmac_f16_e32 v48, 0xb3a8, v14
	v_add_f16_e32 v26, v30, v26
	v_fmamk_f16 v27, v49, 0xb5ac, v31
	v_mul_f16_e32 v30, 0xb5ac, v11
	v_add_f16_e32 v22, v22, v28
	v_add_f16_e32 v28, v48, v32
	v_mul_f16_e32 v32, 0x3770, v46
	v_add_f16_e32 v27, v27, v34
	v_fmamk_f16 v34, v14, 0xbb7b, v30
	v_fma_f16 v31, v49, 0xb5ac, -v31
	v_fmac_f16_e32 v30, 0x3b7b, v14
	v_fmamk_f16 v48, v49, 0x3b15, v32
	v_mul_f16_e32 v50, 0x3b15, v11
	v_add_f16_e32 v34, v34, v38
	v_add_f16_e32 v31, v31, v36
	;; [unrolled: 1-line block ×4, first 2 shown]
	v_fmamk_f16 v36, v14, 0xb770, v50
	v_mul_f16_e32 v38, 0xba95, v46
	v_fma_f16 v32, v49, 0x3b15, -v32
	v_mul_f16_e32 v39, 0x388b, v11
	v_mul_f16_e32 v46, 0xb94e, v46
	v_add_f16_e32 v36, v36, v41
	v_fmamk_f16 v41, v49, 0x388b, v38
	v_add_f16_e32 v32, v32, v33
	v_fmamk_f16 v33, v14, 0x3a95, v39
	v_fma_f16 v38, v49, 0x388b, -v38
	v_fmac_f16_e32 v39, 0xba95, v14
	v_add_f16_e32 v41, v41, v45
	v_mul_f16_e32 v11, 0xb9fd, v11
	v_add_f16_e32 v33, v33, v40
	v_fmamk_f16 v40, v49, 0xb9fd, v46
	v_add_f16_e32 v38, v38, v42
	v_sub_f16_e32 v42, v24, v18
	v_add_f16_e32 v45, v37, v17
	v_add_f16_e32 v18, v24, v18
	;; [unrolled: 1-line block ×3, first 2 shown]
	v_fmac_f16_e32 v50, 0x3770, v14
	v_mul_f16_e32 v47, 0xbb7b, v42
	v_add_f16_e32 v39, v39, v43
	v_fmamk_f16 v43, v14, 0x394e, v11
	v_fma_f16 v24, v49, 0xb9fd, -v46
	v_fmac_f16_e32 v11, 0xb94e, v14
	v_sub_f16_e32 v14, v37, v17
	v_fmamk_f16 v17, v45, 0xb5ac, v47
	v_mul_f16_e32 v37, 0xb5ac, v18
	v_add_f16_e32 v29, v43, v29
	v_add_f16_e32 v10, v24, v10
	;; [unrolled: 1-line block ×4, first 2 shown]
	v_fmamk_f16 v13, v14, 0x3b7b, v37
	v_mul_f16_e32 v17, 0x394e, v42
	v_fma_f16 v24, v45, 0xb5ac, -v47
	v_fmac_f16_e32 v37, 0xbb7b, v14
	v_mul_f16_e32 v43, 0xb9fd, v18
	v_add_f16_e32 v13, v13, v19
	v_fmamk_f16 v19, v45, 0xb9fd, v17
	v_add_f16_e32 v23, v24, v23
	v_add_f16_e32 v21, v37, v21
	v_fmamk_f16 v24, v14, 0xb94e, v43
	v_mul_f16_e32 v37, 0x3770, v42
	v_fma_f16 v17, v45, 0xb9fd, -v17
	v_fmac_f16_e32 v43, 0x394e, v14
	v_add_f16_e32 v19, v19, v20
	v_add_f16_e32 v20, v24, v26
	v_fmamk_f16 v24, v45, 0x3b15, v37
	v_mul_f16_e32 v26, 0x3b15, v18
	v_add_f16_e32 v17, v17, v22
	v_add_f16_e32 v22, v43, v28
	v_mul_f16_e32 v28, 0xbbf1, v42
	v_add_f16_e32 v24, v24, v27
	v_fmamk_f16 v27, v14, 0xb770, v26
	v_fma_f16 v37, v45, 0x3b15, -v37
	v_fmac_f16_e32 v26, 0x3770, v14
	v_fmamk_f16 v43, v45, 0x2fb7, v28
	v_mul_f16_e32 v46, 0x2fb7, v18
	v_add_f16_e32 v27, v27, v34
	v_add_f16_e32 v31, v37, v31
	;; [unrolled: 1-line block ×4, first 2 shown]
	v_fmamk_f16 v34, v14, 0x3bf1, v46
	v_mul_f16_e32 v35, 0x33a8, v42
	v_fma_f16 v28, v45, 0x2fb7, -v28
	v_mul_f16_e32 v37, 0xbbc4, v18
	v_mul_f16_e32 v42, 0x3a95, v42
	v_add_f16_e32 v34, v34, v36
	v_fmamk_f16 v36, v45, 0xbbc4, v35
	v_add_f16_e32 v28, v28, v32
	v_fmamk_f16 v32, v14, 0xb3a8, v37
	v_fma_f16 v35, v45, 0xbbc4, -v35
	v_fmac_f16_e32 v37, 0x33a8, v14
	v_add_f16_e32 v36, v36, v41
	v_mul_f16_e32 v18, 0x388b, v18
	v_add_f16_e32 v32, v32, v33
	v_fmamk_f16 v33, v45, 0x388b, v42
	v_add_f16_e32 v35, v35, v38
	v_sub_f16_e32 v38, v15, v16
	v_add_f16_e32 v15, v15, v16
	v_fmac_f16_e32 v46, 0xbbf1, v14
	v_add_f16_e32 v33, v33, v40
	v_add_f16_e32 v40, v9, v25
	v_mul_f16_e32 v41, 0xb94e, v38
	v_add_f16_e32 v37, v37, v39
	v_fmamk_f16 v39, v14, 0xba95, v18
	v_fma_f16 v16, v45, 0x388b, -v42
	v_fmac_f16_e32 v18, 0x3a95, v14
	v_sub_f16_e32 v9, v9, v25
	v_fmamk_f16 v14, v40, 0xb9fd, v41
	v_mul_f16_e32 v25, 0xb9fd, v15
	v_add_f16_e32 v29, v39, v29
	v_add_f16_e32 v10, v16, v10
	;; [unrolled: 1-line block ×4, first 2 shown]
	v_fmamk_f16 v14, v9, 0x394e, v25
	v_mul_f16_e32 v16, 0x3bf1, v38
	v_fma_f16 v18, v40, 0xb9fd, -v41
	v_fmac_f16_e32 v25, 0xb94e, v9
	v_mul_f16_e32 v39, 0x2fb7, v15
	v_add_f16_e32 v13, v14, v13
	v_fmamk_f16 v14, v40, 0x2fb7, v16
	v_add_f16_e32 v18, v18, v23
	v_add_f16_e32 v21, v25, v21
	v_fmamk_f16 v23, v9, 0xbbf1, v39
	v_mul_f16_e32 v25, 0xba95, v38
	v_fma_f16 v16, v40, 0x2fb7, -v16
	v_fmac_f16_e32 v39, 0x3bf1, v9
	v_add_f16_e32 v14, v14, v19
	v_add_f16_e32 v19, v23, v20
	v_fmamk_f16 v20, v40, 0x388b, v25
	v_mul_f16_e32 v23, 0x388b, v15
	v_add_f16_e32 v16, v16, v17
	v_add_f16_e32 v17, v39, v22
	v_mul_f16_e32 v22, 0x33a8, v38
	v_add_f16_e32 v20, v20, v24
	v_fmamk_f16 v24, v9, 0x3a95, v23
	v_fmac_f16_e32 v23, 0xba95, v9
	v_mul_f16_e32 v41, 0xbbc4, v15
	v_fmamk_f16 v39, v40, 0xbbc4, v22
	v_fma_f16 v25, v40, 0x388b, -v25
	v_add_f16_e32 v24, v24, v27
	v_add_f16_e32 v23, v23, v26
	v_fmamk_f16 v27, v9, 0xb3a8, v41
	v_add_f16_e32 v26, v39, v30
	v_mul_f16_e32 v30, 0x3770, v38
	v_add_f16_e32 v25, v25, v31
	v_mul_f16_e32 v31, 0x3b15, v15
	;; [unrolled: 2-line block ×3, first 2 shown]
	v_fmamk_f16 v34, v40, 0x3b15, v30
	v_fma_f16 v30, v40, 0x3b15, -v30
	v_fmamk_f16 v39, v9, 0xb770, v31
	v_fmac_f16_e32 v31, 0x3770, v9
	v_mul_f16_e32 v15, 0xb5ac, v15
	v_add_f16_e32 v34, v34, v36
	v_fmamk_f16 v36, v40, 0xb5ac, v38
	v_add_f16_e32 v30, v30, v35
	v_sub_f16_e32 v35, v7, v8
	v_add_f16_e32 v7, v7, v8
	v_fmac_f16_e32 v41, 0x33a8, v9
	v_add_f16_e32 v31, v31, v37
	v_add_f16_e32 v33, v36, v33
	v_fmamk_f16 v36, v9, 0x3b7b, v15
	v_add_f16_e32 v37, v5, v6
	v_mul_f16_e32 v8, 0xb3a8, v35
	v_fmac_f16_e32 v15, 0xbb7b, v9
	v_sub_f16_e32 v9, v5, v6
	v_mul_f16_e32 v5, 0xbbc4, v7
	v_add_f16_e32 v29, v36, v29
	v_fmamk_f16 v6, v37, 0xbbc4, v8
	v_add_f16_e32 v11, v15, v11
	v_fma_f16 v8, v37, 0xbbc4, -v8
	v_fmamk_f16 v15, v9, 0x33a8, v5
	v_fmac_f16_e32 v5, 0xb3a8, v9
	v_add_f16_e32 v12, v6, v12
	v_mul_f16_e32 v6, 0x3770, v35
	v_add_f16_e32 v18, v8, v18
	v_add_f16_e32 v13, v15, v13
	v_mul_f16_e32 v15, 0x3b15, v7
	v_add_f16_e32 v21, v5, v21
	v_fmamk_f16 v36, v37, 0x3b15, v6
	v_mul_f16_e32 v5, 0xb94e, v35
	v_fma_f16 v6, v37, 0x3b15, -v6
	v_fmamk_f16 v8, v9, 0xb770, v15
	v_fmac_f16_e32 v15, 0x3770, v9
	v_add_f16_e32 v14, v36, v14
	v_fmamk_f16 v36, v37, 0xb9fd, v5
	v_fma_f16 v38, v40, 0xb5ac, -v38
	v_add_f16_e32 v19, v8, v19
	v_mul_f16_e32 v8, 0xb9fd, v7
	v_add_f16_e32 v16, v6, v16
	v_add_f16_e32 v15, v15, v17
	;; [unrolled: 1-line block ×3, first 2 shown]
	v_mul_f16_e32 v6, 0x3a95, v35
	v_fmamk_f16 v20, v9, 0x394e, v8
	v_fma_f16 v5, v37, 0xb9fd, -v5
	v_mul_f16_e32 v36, 0x388b, v7
	v_fmac_f16_e32 v8, 0xb94e, v9
	v_fma_f16 v22, v40, 0xbbc4, -v22
	v_add_f16_e32 v10, v38, v10
	v_fmamk_f16 v38, v37, 0x388b, v6
	v_add_f16_e32 v20, v20, v24
	v_add_f16_e32 v24, v5, v25
	v_fmamk_f16 v5, v9, 0xba95, v36
	v_add_f16_e32 v23, v8, v23
	v_mul_f16_e32 v8, 0xbb7b, v35
	v_add_f16_e32 v22, v22, v28
	v_add_f16_e32 v25, v38, v26
	v_mul_f16_e32 v26, 0xb5ac, v7
	v_add_f16_e32 v27, v5, v27
	v_fma_f16 v5, v37, 0x388b, -v6
	v_add_f16_e32 v44, v54, v44
	v_fmamk_f16 v6, v37, 0xb5ac, v8
	v_fma_f16 v8, v37, 0xb5ac, -v8
	v_add_f16_e32 v32, v39, v32
	v_fmamk_f16 v38, v9, 0x3b7b, v26
	v_add_f16_e32 v22, v5, v22
	v_add_co_ci_u32_e64 v5, null, 0, 0, s3
	v_add_f16_e32 v44, v50, v44
	v_add_f16_e32 v30, v8, v30
	v_mul_f16_e32 v8, 0x3bf1, v35
	v_add_f16_e32 v34, v6, v34
	v_add_f16_e32 v32, v38, v32
	v_mul_lo_u32 v38, v5, s0
	v_mul_lo_u32 v39, v1, s1
	v_mad_u64_u32 v[5:6], null, v1, s0, 0
	v_add_f16_e32 v43, v46, v44
	v_fmac_f16_e32 v26, 0xbb7b, v9
	v_fmamk_f16 v35, v37, 0x2fb7, v8
	v_fma_f16 v1, v37, 0x2fb7, -v8
	v_fmac_f16_e32 v36, 0x3a95, v9
	v_add_f16_e32 v28, v41, v43
	v_mul_f16_e32 v7, 0x2fb7, v7
	v_add_f16_e32 v26, v26, v31
	v_add_f16_e32 v31, v35, v33
	;; [unrolled: 1-line block ×3, first 2 shown]
	v_add3_u32 v6, v6, v39, v38
	v_mul_lo_u32 v1, v0, s2
	v_add_f16_e32 v28, v36, v28
	v_fmamk_f16 v36, v9, 0xbbf1, v7
	v_fmac_f16_e32 v7, 0x3bf1, v9
	s_lshl_b64 s[0:1], s[4:5], 2
	v_lshlrev_b64 v[5:6], 2, v[5:6]
	s_add_u32 s3, s10, s0
	s_mul_i32 s2, s2, 13
	s_addc_u32 s4, s11, s1
	s_lshl_b64 s[0:1], s[14:15], 2
	v_add_f16_e32 v0, v7, v11
	v_lshlrev_b64 v[7:8], 2, v[1:2]
	v_add_nc_u32_e32 v1, s2, v1
	s_add_u32 s0, s3, s0
	s_addc_u32 s1, s4, s1
	v_add_co_u32 v35, vcc_lo, s0, v5
	v_add_f16_e32 v29, v36, v29
	v_add_co_ci_u32_e32 v36, vcc_lo, s1, v6, vcc_lo
	v_lshlrev_b64 v[5:6], 2, v[1:2]
	v_add_nc_u32_e32 v1, s2, v1
	v_add_co_u32 v7, vcc_lo, v35, v7
	v_add_co_ci_u32_e32 v8, vcc_lo, v36, v8, vcc_lo
	v_lshlrev_b64 v[9:10], 2, v[1:2]
	v_add_nc_u32_e32 v1, s2, v1
	v_add_co_u32 v5, vcc_lo, v35, v5
	v_pack_b32_f16 v3, v12, v13
	v_add_co_ci_u32_e32 v6, vcc_lo, v36, v6, vcc_lo
	v_lshlrev_b64 v[11:12], 2, v[1:2]
	v_add_nc_u32_e32 v1, s2, v1
	v_add_co_u32 v9, vcc_lo, v35, v9
	v_add_co_ci_u32_e32 v10, vcc_lo, v36, v10, vcc_lo
	v_pack_b32_f16 v19, v14, v19
	v_lshlrev_b64 v[13:14], 2, v[1:2]
	v_add_nc_u32_e32 v1, s2, v1
	v_add_co_u32 v11, vcc_lo, v35, v11
	v_add_co_ci_u32_e32 v12, vcc_lo, v36, v12, vcc_lo
	v_pack_b32_f16 v17, v17, v20
	global_store_dword v[7:8], v4, off
	global_store_dword v[5:6], v3, off
	;; [unrolled: 1-line block ×4, first 2 shown]
	v_lshlrev_b64 v[3:4], 2, v[1:2]
	v_add_nc_u32_e32 v1, s2, v1
	v_add_co_u32 v5, vcc_lo, v35, v13
	v_add_co_ci_u32_e32 v6, vcc_lo, v36, v14, vcc_lo
	v_lshlrev_b64 v[7:8], 2, v[1:2]
	v_add_nc_u32_e32 v1, s2, v1
	v_add_co_u32 v3, vcc_lo, v35, v3
	v_add_co_ci_u32_e32 v4, vcc_lo, v36, v4, vcc_lo
	v_lshlrev_b64 v[9:10], 2, v[1:2]
	v_add_nc_u32_e32 v1, s2, v1
	v_add_co_u32 v7, vcc_lo, v35, v7
	v_pack_b32_f16 v13, v25, v27
	v_add_co_ci_u32_e32 v8, vcc_lo, v36, v8, vcc_lo
	v_lshlrev_b64 v[11:12], 2, v[1:2]
	v_add_nc_u32_e32 v1, s2, v1
	v_pack_b32_f16 v14, v34, v32
	v_add_co_u32 v9, vcc_lo, v35, v9
	v_pack_b32_f16 v17, v31, v29
	v_add_co_ci_u32_e32 v10, vcc_lo, v36, v10, vcc_lo
	v_pack_b32_f16 v0, v33, v0
	global_store_dword v[5:6], v13, off
	global_store_dword v[3:4], v14, off
	;; [unrolled: 1-line block ×4, first 2 shown]
	v_lshlrev_b64 v[3:4], 2, v[1:2]
	v_add_nc_u32_e32 v1, s2, v1
	v_add_co_u32 v5, vcc_lo, v35, v11
	v_add_co_ci_u32_e32 v6, vcc_lo, v36, v12, vcc_lo
	v_lshlrev_b64 v[7:8], 2, v[1:2]
	v_add_nc_u32_e32 v1, s2, v1
	v_add_co_u32 v3, vcc_lo, v35, v3
	v_add_co_ci_u32_e32 v4, vcc_lo, v36, v4, vcc_lo
	v_lshlrev_b64 v[9:10], 2, v[1:2]
	v_add_nc_u32_e32 v1, s2, v1
	v_add_co_u32 v7, vcc_lo, v35, v7
	v_add_co_ci_u32_e32 v8, vcc_lo, v36, v8, vcc_lo
	v_lshlrev_b64 v[0:1], 2, v[1:2]
	v_add_co_u32 v9, vcc_lo, v35, v9
	v_pack_b32_f16 v11, v30, v26
	v_pack_b32_f16 v12, v22, v28
	v_add_co_ci_u32_e32 v10, vcc_lo, v36, v10, vcc_lo
	v_pack_b32_f16 v13, v24, v23
	v_add_co_u32 v0, vcc_lo, v35, v0
	v_pack_b32_f16 v2, v16, v15
	v_add_co_ci_u32_e32 v1, vcc_lo, v36, v1, vcc_lo
	v_pack_b32_f16 v14, v18, v21
	global_store_dword v[5:6], v11, off
	global_store_dword v[3:4], v12, off
	;; [unrolled: 1-line block ×5, first 2 shown]
	s_endpgm
	.section	.rodata,"a",@progbits
	.p2align	6, 0x0
	.amdhsa_kernel fft_rtc_back_len169_factors_13_13_wgs_156_tpt_13_half_op_CI_CI_sbrc_xy_z_aligned_dirReg
		.amdhsa_group_segment_fixed_size 0
		.amdhsa_private_segment_fixed_size 0
		.amdhsa_kernarg_size 104
		.amdhsa_user_sgpr_count 6
		.amdhsa_user_sgpr_private_segment_buffer 1
		.amdhsa_user_sgpr_dispatch_ptr 0
		.amdhsa_user_sgpr_queue_ptr 0
		.amdhsa_user_sgpr_kernarg_segment_ptr 1
		.amdhsa_user_sgpr_dispatch_id 0
		.amdhsa_user_sgpr_flat_scratch_init 0
		.amdhsa_user_sgpr_private_segment_size 0
		.amdhsa_wavefront_size32 1
		.amdhsa_uses_dynamic_stack 0
		.amdhsa_system_sgpr_private_segment_wavefront_offset 0
		.amdhsa_system_sgpr_workgroup_id_x 1
		.amdhsa_system_sgpr_workgroup_id_y 0
		.amdhsa_system_sgpr_workgroup_id_z 0
		.amdhsa_system_sgpr_workgroup_info 0
		.amdhsa_system_vgpr_workitem_id 0
		.amdhsa_next_free_vgpr 57
		.amdhsa_next_free_sgpr 32
		.amdhsa_reserve_vcc 1
		.amdhsa_reserve_flat_scratch 0
		.amdhsa_float_round_mode_32 0
		.amdhsa_float_round_mode_16_64 0
		.amdhsa_float_denorm_mode_32 3
		.amdhsa_float_denorm_mode_16_64 3
		.amdhsa_dx10_clamp 1
		.amdhsa_ieee_mode 1
		.amdhsa_fp16_overflow 0
		.amdhsa_workgroup_processor_mode 1
		.amdhsa_memory_ordered 1
		.amdhsa_forward_progress 0
		.amdhsa_shared_vgpr_count 0
		.amdhsa_exception_fp_ieee_invalid_op 0
		.amdhsa_exception_fp_denorm_src 0
		.amdhsa_exception_fp_ieee_div_zero 0
		.amdhsa_exception_fp_ieee_overflow 0
		.amdhsa_exception_fp_ieee_underflow 0
		.amdhsa_exception_fp_ieee_inexact 0
		.amdhsa_exception_int_div_zero 0
	.end_amdhsa_kernel
	.text
.Lfunc_end0:
	.size	fft_rtc_back_len169_factors_13_13_wgs_156_tpt_13_half_op_CI_CI_sbrc_xy_z_aligned_dirReg, .Lfunc_end0-fft_rtc_back_len169_factors_13_13_wgs_156_tpt_13_half_op_CI_CI_sbrc_xy_z_aligned_dirReg
                                        ; -- End function
	.section	.AMDGPU.csdata,"",@progbits
; Kernel info:
; codeLenInByte = 9792
; NumSgprs: 34
; NumVgprs: 57
; ScratchSize: 0
; MemoryBound: 0
; FloatMode: 240
; IeeeMode: 1
; LDSByteSize: 0 bytes/workgroup (compile time only)
; SGPRBlocks: 4
; VGPRBlocks: 7
; NumSGPRsForWavesPerEU: 34
; NumVGPRsForWavesPerEU: 57
; Occupancy: 15
; WaveLimiterHint : 1
; COMPUTE_PGM_RSRC2:SCRATCH_EN: 0
; COMPUTE_PGM_RSRC2:USER_SGPR: 6
; COMPUTE_PGM_RSRC2:TRAP_HANDLER: 0
; COMPUTE_PGM_RSRC2:TGID_X_EN: 1
; COMPUTE_PGM_RSRC2:TGID_Y_EN: 0
; COMPUTE_PGM_RSRC2:TGID_Z_EN: 0
; COMPUTE_PGM_RSRC2:TIDIG_COMP_CNT: 0
	.text
	.p2alignl 6, 3214868480
	.fill 48, 4, 3214868480
	.type	__hip_cuid_ea1f7d296c732c98,@object ; @__hip_cuid_ea1f7d296c732c98
	.section	.bss,"aw",@nobits
	.globl	__hip_cuid_ea1f7d296c732c98
__hip_cuid_ea1f7d296c732c98:
	.byte	0                               ; 0x0
	.size	__hip_cuid_ea1f7d296c732c98, 1

	.ident	"AMD clang version 19.0.0git (https://github.com/RadeonOpenCompute/llvm-project roc-6.4.0 25133 c7fe45cf4b819c5991fe208aaa96edf142730f1d)"
	.section	".note.GNU-stack","",@progbits
	.addrsig
	.addrsig_sym __hip_cuid_ea1f7d296c732c98
	.amdgpu_metadata
---
amdhsa.kernels:
  - .args:
      - .actual_access:  read_only
        .address_space:  global
        .offset:         0
        .size:           8
        .value_kind:     global_buffer
      - .offset:         8
        .size:           8
        .value_kind:     by_value
      - .actual_access:  read_only
        .address_space:  global
        .offset:         16
        .size:           8
        .value_kind:     global_buffer
      - .actual_access:  read_only
        .address_space:  global
        .offset:         24
        .size:           8
        .value_kind:     global_buffer
      - .actual_access:  read_only
        .address_space:  global
        .offset:         32
        .size:           8
        .value_kind:     global_buffer
      - .offset:         40
        .size:           8
        .value_kind:     by_value
      - .actual_access:  read_only
        .address_space:  global
        .offset:         48
        .size:           8
        .value_kind:     global_buffer
      - .actual_access:  read_only
        .address_space:  global
        .offset:         56
        .size:           8
        .value_kind:     global_buffer
      - .offset:         64
        .size:           4
        .value_kind:     by_value
      - .actual_access:  read_only
        .address_space:  global
        .offset:         72
        .size:           8
        .value_kind:     global_buffer
      - .actual_access:  read_only
        .address_space:  global
        .offset:         80
        .size:           8
        .value_kind:     global_buffer
      - .actual_access:  read_only
        .address_space:  global
        .offset:         88
        .size:           8
        .value_kind:     global_buffer
      - .actual_access:  write_only
        .address_space:  global
        .offset:         96
        .size:           8
        .value_kind:     global_buffer
    .group_segment_fixed_size: 0
    .kernarg_segment_align: 8
    .kernarg_segment_size: 104
    .language:       OpenCL C
    .language_version:
      - 2
      - 0
    .max_flat_workgroup_size: 156
    .name:           fft_rtc_back_len169_factors_13_13_wgs_156_tpt_13_half_op_CI_CI_sbrc_xy_z_aligned_dirReg
    .private_segment_fixed_size: 0
    .sgpr_count:     34
    .sgpr_spill_count: 0
    .symbol:         fft_rtc_back_len169_factors_13_13_wgs_156_tpt_13_half_op_CI_CI_sbrc_xy_z_aligned_dirReg.kd
    .uniform_work_group_size: 1
    .uses_dynamic_stack: false
    .vgpr_count:     57
    .vgpr_spill_count: 0
    .wavefront_size: 32
    .workgroup_processor_mode: 1
amdhsa.target:   amdgcn-amd-amdhsa--gfx1030
amdhsa.version:
  - 1
  - 2
...

	.end_amdgpu_metadata
